;; amdgpu-corpus repo=ROCm/MIOpen kind=compiled arch=gfx906 opt=O3
	.amdgcn_target "amdgcn-amd-amdhsa--gfx906"
	.amdhsa_code_object_version 6
	.text
	.protected	wrw_reduction_hip       ; -- Begin function wrw_reduction_hip
	.globl	wrw_reduction_hip
	.p2align	8
	.type	wrw_reduction_hip,@function
wrw_reduction_hip:                      ; @wrw_reduction_hip
; %bb.0:
	s_load_dwordx4 s[8:11], s[4:5], 0x10
	s_waitcnt lgkmcnt(0)
	s_cmp_lt_i32 s8, 1
	s_cbranch_scc1 .LBB0_7
; %bb.1:
	v_lshl_or_b32 v0, s6, 8, v0
	v_mul_lo_u32 v0, v0, s8
	s_load_dwordx4 s[0:3], s[4:5], 0x0
	s_cmp_gt_i32 s10, 0
	s_mov_b32 s4, s9
	v_ashrrev_i32_e32 v1, 31, v0
	v_lshlrev_b64 v[0:1], 2, v[0:1]
	s_waitcnt lgkmcnt(0)
	v_mov_b32_e32 v2, s3
	v_add_co_u32_e32 v4, vcc, s2, v0
	v_addc_co_u32_e32 v5, vcc, v2, v1, vcc
	v_mov_b32_e32 v2, s1
	v_add_co_u32_e32 v8, vcc, s0, v0
	s_cselect_b64 s[0:1], -1, 0
	s_ashr_i32 s5, s9, 31
	s_mov_b32 s3, 0
	s_lshl_b64 s[4:5], s[4:5], 2
	v_cndmask_b32_e64 v0, 0, 1, s[0:1]
	v_addc_co_u32_e32 v9, vcc, v2, v1, vcc
	v_cmp_ne_u32_e64 s[0:1], 1, v0
	v_mov_b32_e32 v10, s5
	s_mov_b32 s2, s3
	s_branch .LBB0_4
.LBB0_2:                                ;   in Loop: Header=BB0_4 Depth=1
	v_mov_b32_e32 v3, 0
	v_mov_b32_e32 v2, v3
	;; [unrolled: 1-line block ×4, first 2 shown]
.LBB0_3:                                ;   in Loop: Header=BB0_4 Depth=1
	s_lshl_b64 s[6:7], s[2:3], 2
	v_mov_b32_e32 v7, s7
	v_add_co_u32_e32 v6, vcc, s6, v8
	v_addc_co_u32_e32 v7, vcc, v9, v7, vcc
	s_add_i32 s2, s2, 4
	v_add_co_u32_e32 v4, vcc, 16, v4
	s_cmp_lt_i32 s2, s8
	v_addc_co_u32_e32 v5, vcc, 0, v5, vcc
	global_store_dwordx4 v[6:7], v[0:3], off
	s_cbranch_scc0 .LBB0_7
.LBB0_4:                                ; =>This Loop Header: Depth=1
                                        ;     Child Loop BB0_6 Depth 2
	s_and_b64 vcc, exec, s[0:1]
	s_cbranch_vccnz .LBB0_2
; %bb.5:                                ;   in Loop: Header=BB0_4 Depth=1
	v_mov_b32_e32 v0, 0
	v_mov_b32_e32 v7, v5
	;; [unrolled: 1-line block ×3, first 2 shown]
	s_mov_b32 s5, s10
	v_mov_b32_e32 v1, v0
	v_mov_b32_e32 v2, v0
	v_mov_b32_e32 v3, v0
.LBB0_6:                                ;   Parent Loop BB0_4 Depth=1
                                        ; =>  This Inner Loop Header: Depth=2
	global_load_dwordx4 v[11:14], v[6:7], off
	s_add_i32 s5, s5, -1
	v_add_co_u32_e32 v6, vcc, s4, v6
	v_addc_co_u32_e32 v7, vcc, v7, v10, vcc
	s_cmp_lg_u32 s5, 0
	s_waitcnt vmcnt(0)
	v_add_f32_e32 v0, v0, v11
	v_add_f32_e32 v1, v1, v12
	;; [unrolled: 1-line block ×4, first 2 shown]
	s_cbranch_scc1 .LBB0_6
	s_branch .LBB0_3
.LBB0_7:
	s_endpgm
	.section	.rodata,"a",@progbits
	.p2align	6, 0x0
	.amdhsa_kernel wrw_reduction_hip
		.amdhsa_group_segment_fixed_size 0
		.amdhsa_private_segment_fixed_size 0
		.amdhsa_kernarg_size 28
		.amdhsa_user_sgpr_count 6
		.amdhsa_user_sgpr_private_segment_buffer 1
		.amdhsa_user_sgpr_dispatch_ptr 0
		.amdhsa_user_sgpr_queue_ptr 0
		.amdhsa_user_sgpr_kernarg_segment_ptr 1
		.amdhsa_user_sgpr_dispatch_id 0
		.amdhsa_user_sgpr_flat_scratch_init 0
		.amdhsa_user_sgpr_private_segment_size 0
		.amdhsa_uses_dynamic_stack 0
		.amdhsa_system_sgpr_private_segment_wavefront_offset 0
		.amdhsa_system_sgpr_workgroup_id_x 1
		.amdhsa_system_sgpr_workgroup_id_y 0
		.amdhsa_system_sgpr_workgroup_id_z 0
		.amdhsa_system_sgpr_workgroup_info 0
		.amdhsa_system_vgpr_workitem_id 0
		.amdhsa_next_free_vgpr 15
		.amdhsa_next_free_sgpr 12
		.amdhsa_reserve_vcc 1
		.amdhsa_reserve_flat_scratch 0
		.amdhsa_float_round_mode_32 0
		.amdhsa_float_round_mode_16_64 0
		.amdhsa_float_denorm_mode_32 3
		.amdhsa_float_denorm_mode_16_64 3
		.amdhsa_dx10_clamp 1
		.amdhsa_ieee_mode 1
		.amdhsa_fp16_overflow 0
		.amdhsa_exception_fp_ieee_invalid_op 0
		.amdhsa_exception_fp_denorm_src 0
		.amdhsa_exception_fp_ieee_div_zero 0
		.amdhsa_exception_fp_ieee_overflow 0
		.amdhsa_exception_fp_ieee_underflow 0
		.amdhsa_exception_fp_ieee_inexact 0
		.amdhsa_exception_int_div_zero 0
	.end_amdhsa_kernel
	.text
.Lfunc_end0:
	.size	wrw_reduction_hip, .Lfunc_end0-wrw_reduction_hip
                                        ; -- End function
	.set wrw_reduction_hip.num_vgpr, 15
	.set wrw_reduction_hip.num_agpr, 0
	.set wrw_reduction_hip.numbered_sgpr, 12
	.set wrw_reduction_hip.num_named_barrier, 0
	.set wrw_reduction_hip.private_seg_size, 0
	.set wrw_reduction_hip.uses_vcc, 1
	.set wrw_reduction_hip.uses_flat_scratch, 0
	.set wrw_reduction_hip.has_dyn_sized_stack, 0
	.set wrw_reduction_hip.has_recursion, 0
	.set wrw_reduction_hip.has_indirect_call, 0
	.section	.AMDGPU.csdata,"",@progbits
; Kernel info:
; codeLenInByte = 288
; TotalNumSgprs: 16
; NumVgprs: 15
; ScratchSize: 0
; MemoryBound: 0
; FloatMode: 240
; IeeeMode: 1
; LDSByteSize: 0 bytes/workgroup (compile time only)
; SGPRBlocks: 1
; VGPRBlocks: 3
; NumSGPRsForWavesPerEU: 16
; NumVGPRsForWavesPerEU: 15
; Occupancy: 10
; WaveLimiterHint : 0
; COMPUTE_PGM_RSRC2:SCRATCH_EN: 0
; COMPUTE_PGM_RSRC2:USER_SGPR: 6
; COMPUTE_PGM_RSRC2:TRAP_HANDLER: 0
; COMPUTE_PGM_RSRC2:TGID_X_EN: 1
; COMPUTE_PGM_RSRC2:TGID_Y_EN: 0
; COMPUTE_PGM_RSRC2:TGID_Z_EN: 0
; COMPUTE_PGM_RSRC2:TIDIG_COMP_CNT: 0
	.section	.AMDGPU.gpr_maximums,"",@progbits
	.set amdgpu.max_num_vgpr, 0
	.set amdgpu.max_num_agpr, 0
	.set amdgpu.max_num_sgpr, 0
	.section	.AMDGPU.csdata,"",@progbits
	.type	__hip_cuid_99e2f00940f327e5,@object ; @__hip_cuid_99e2f00940f327e5
	.section	.bss,"aw",@nobits
	.globl	__hip_cuid_99e2f00940f327e5
__hip_cuid_99e2f00940f327e5:
	.byte	0                               ; 0x0
	.size	__hip_cuid_99e2f00940f327e5, 1

	.ident	"AMD clang version 22.0.0git (https://github.com/RadeonOpenCompute/llvm-project roc-7.2.4 26084 f58b06dce1f9c15707c5f808fd002e18c2accf7e)"
	.section	".note.GNU-stack","",@progbits
	.addrsig
	.addrsig_sym __hip_cuid_99e2f00940f327e5
	.amdgpu_metadata
---
amdhsa.kernels:
  - .args:
      - .address_space:  global
        .offset:         0
        .size:           8
        .value_kind:     global_buffer
      - .address_space:  global
        .offset:         8
        .size:           8
        .value_kind:     global_buffer
      - .offset:         16
        .size:           4
        .value_kind:     by_value
      - .offset:         20
        .size:           4
        .value_kind:     by_value
      - .offset:         24
        .size:           4
        .value_kind:     by_value
    .group_segment_fixed_size: 0
    .kernarg_segment_align: 8
    .kernarg_segment_size: 28
    .language:       OpenCL C
    .language_version:
      - 2
      - 0
    .max_flat_workgroup_size: 256
    .name:           wrw_reduction_hip
    .private_segment_fixed_size: 0
    .sgpr_count:     16
    .sgpr_spill_count: 0
    .symbol:         wrw_reduction_hip.kd
    .uniform_work_group_size: 1
    .uses_dynamic_stack: false
    .vgpr_count:     15
    .vgpr_spill_count: 0
    .wavefront_size: 64
amdhsa.target:   amdgcn-amd-amdhsa--gfx906
amdhsa.version:
  - 1
  - 2
...

	.end_amdgpu_metadata
